;; amdgpu-corpus repo=zjin-lcf/HeCBench kind=compiled arch=gfx1250 opt=O3
	.amdgcn_target "amdgcn-amd-amdhsa--gfx1250"
	.amdhsa_code_object_version 6
	.text
	.protected	_Z3lbmPKdPdPK15HIP_vector_typeIdLj4EEPS3_S5_S6_PKb7double8S9_S0_d ; -- Begin function _Z3lbmPKdPdPK15HIP_vector_typeIdLj4EEPS3_S5_S6_PKb7double8S9_S0_d
	.globl	_Z3lbmPKdPdPK15HIP_vector_typeIdLj4EEPS3_S5_S6_PKb7double8S9_S0_d
	.p2align	8
	.type	_Z3lbmPKdPdPK15HIP_vector_typeIdLj4EEPS3_S5_S6_PKb7double8S9_S0_d,@function
_Z3lbmPKdPdPK15HIP_vector_typeIdLj4EEPS3_S5_S6_PKb7double8S9_S0_d: ; @_Z3lbmPKdPdPK15HIP_vector_typeIdLj4EEPS3_S5_S6_PKb7double8S9_S0_d
; %bb.0:
	s_clause 0x1
	s_load_b32 s4, s[0:1], 0xdc
	s_load_b64 s[2:3], s[0:1], 0xd0
	s_bfe_u32 s6, ttmp6, 0x4000c
	s_bfe_u32 s7, ttmp6, 0x40010
	s_add_co_i32 s6, s6, 1
	s_add_co_i32 s7, s7, 1
	s_and_b32 s5, ttmp6, 15
	s_bfe_u32 s8, ttmp6, 0x40004
	s_mul_i32 s6, ttmp9, s6
	s_mul_i32 s7, ttmp7, s7
	s_getreg_b32 s9, hwreg(HW_REG_IB_STS2, 6, 4)
	v_bfe_u32 v1, v0, 10, 10
	v_and_b32_e32 v0, 0x3ff, v0
	s_add_co_i32 s5, s5, s6
	s_add_co_i32 s8, s8, s7
	s_wait_kmcnt 0x0
	s_lshr_b32 s25, s4, 16
	s_and_b32 s6, s4, 0xffff
	s_cmp_eq_u32 s9, 0
	s_mul_i32 s24, s2, s6
	s_cselect_b32 s4, ttmp7, s8
	s_cselect_b32 s5, ttmp9, s5
	v_mad_u32 v24, s4, s25, v1
	v_mad_u32 v25, s5, s6, v0
	s_clause 0x3
	s_load_b64 s[4:5], s[0:1], 0x30
	s_load_b64 s[6:7], s[0:1], 0x10
	;; [unrolled: 1-line block ×4, first 2 shown]
	s_delay_alu instid0(VALU_DEP_1) | instskip(SKIP_3) | instid1(VALU_DEP_1)
	v_mad_u32 v16, v24, s24, v25
	s_wait_kmcnt 0x0
	global_load_u8 v26, v16, s[4:5]
	v_mov_b32_e32 v17, 0
	v_lshlrev_b64_e32 v[0:1], 5, v[16:17]
	s_delay_alu instid0(VALU_DEP_1)
	v_add_nc_u64_e32 v[20:21], s[6:7], v[0:1]
	v_add_nc_u64_e32 v[22:23], s[8:9], v[0:1]
	global_load_b64 v[18:19], v16, s[10:11] scale_offset
	s_clause 0x1
	global_load_b128 v[4:7], v[20:21], off offset:16
	global_load_b128 v[8:11], v[20:21], off
	s_clause 0x1
	global_load_b128 v[0:3], v[22:23], off offset:16
	global_load_b128 v[12:15], v[22:23], off
	s_clause 0x1
	s_load_b512 s[36:51], s[0:1], 0x40
	s_load_b512 s[8:23], s[0:1], 0x80
	s_wait_loadcnt 0x5
	v_and_b32_e32 v20, 1, v26
	s_delay_alu instid0(VALU_DEP_1) | instskip(SKIP_1) | instid1(SALU_CYCLE_1)
	v_cmp_eq_u32_e32 vcc_lo, 1, v20
	s_xor_b32 s2, vcc_lo, -1
	s_and_saveexec_b32 s26, s2
	s_cbranch_execz .LBB0_2
; %bb.1:
	s_wait_loadcnt 0x0
	v_add_f64_e32 v[20:21], v[8:9], v[12:13]
	v_add_f64_e32 v[22:23], v[10:11], v[14:15]
	s_wait_kmcnt 0x0
	v_mul_f64_e32 v[26:27], s[38:39], v[10:11]
	v_mul_f64_e32 v[28:29], s[42:43], v[6:7]
	;; [unrolled: 1-line block ×8, first 2 shown]
	v_add_f64_e32 v[42:43], v[4:5], v[0:1]
	s_load_b128 s[4:7], s[0:1], 0xc0
	v_add_f64_e32 v[20:21], v[18:19], v[20:21]
	s_wait_kmcnt 0x0
	s_load_b512 s[52:67], s[4:5], 0x0
	v_fmac_f64_e32 v[26:27], s[36:37], v[8:9]
	v_fmac_f64_e32 v[28:29], s[40:41], v[4:5]
	;; [unrolled: 1-line block ×8, first 2 shown]
	s_wait_xcnt 0x0
	s_load_b64 s[4:5], s[4:5], 0x40
	v_add_f64_e32 v[20:21], v[20:21], v[22:23]
	v_add_f64_e32 v[22:23], v[6:7], v[2:3]
	;; [unrolled: 1-line block ×7, first 2 shown]
	s_delay_alu instid0(VALU_DEP_4) | instskip(NEXT) | instid1(VALU_DEP_2)
	v_add_f64_e32 v[26:27], v[26:27], v[28:29]
	v_add_f64_e32 v[20:21], v[20:21], v[22:23]
	s_delay_alu instid0(VALU_DEP_4) | instskip(NEXT) | instid1(VALU_DEP_2)
	v_add_f64_e32 v[22:23], v[30:31], v[32:33]
	v_div_scale_f64 v[28:29], null, v[20:21], v[20:21], v[26:27]
	s_delay_alu instid0(VALU_DEP_2) | instskip(SKIP_1) | instid1(VALU_DEP_3)
	v_div_scale_f64 v[30:31], null, v[20:21], v[20:21], v[22:23]
	v_div_scale_f64 v[40:41], vcc_lo, v[26:27], v[20:21], v[26:27]
	v_rcp_f64_e32 v[32:33], v[28:29]
	s_delay_alu instid0(VALU_DEP_2) | instskip(NEXT) | instid1(TRANS32_DEP_2)
	v_rcp_f64_e32 v[34:35], v[30:31]
	v_fma_f64 v[36:37], -v[28:29], v[32:33], 1.0
	s_delay_alu instid0(TRANS32_DEP_1) | instskip(NEXT) | instid1(VALU_DEP_2)
	v_fma_f64 v[38:39], -v[30:31], v[34:35], 1.0
	v_fmac_f64_e32 v[32:33], v[32:33], v[36:37]
	s_delay_alu instid0(VALU_DEP_2) | instskip(NEXT) | instid1(VALU_DEP_2)
	v_fmac_f64_e32 v[34:35], v[34:35], v[38:39]
	v_fma_f64 v[36:37], -v[28:29], v[32:33], 1.0
	s_delay_alu instid0(VALU_DEP_2) | instskip(NEXT) | instid1(VALU_DEP_2)
	v_fma_f64 v[38:39], -v[30:31], v[34:35], 1.0
	v_fmac_f64_e32 v[32:33], v[32:33], v[36:37]
	v_div_scale_f64 v[36:37], s2, v[22:23], v[20:21], v[22:23]
	s_delay_alu instid0(VALU_DEP_3) | instskip(NEXT) | instid1(VALU_DEP_3)
	v_fmac_f64_e32 v[34:35], v[34:35], v[38:39]
	v_mul_f64_e32 v[38:39], v[40:41], v[32:33]
	s_delay_alu instid0(VALU_DEP_2) | instskip(NEXT) | instid1(VALU_DEP_2)
	v_mul_f64_e32 v[42:43], v[36:37], v[34:35]
	v_fma_f64 v[28:29], -v[28:29], v[38:39], v[40:41]
	s_delay_alu instid0(VALU_DEP_2) | instskip(NEXT) | instid1(VALU_DEP_2)
	v_fma_f64 v[30:31], -v[30:31], v[42:43], v[36:37]
	v_div_fmas_f64 v[28:29], v[28:29], v[32:33], v[38:39]
	s_mov_b32 vcc_lo, s2
	s_delay_alu instid0(VALU_DEP_2) | instskip(NEXT) | instid1(VALU_DEP_1)
	v_div_fmas_f64 v[30:31], v[30:31], v[34:35], v[42:43]
	v_div_fixup_f64 v[30:31], v[30:31], v[20:21], v[22:23]
	s_delay_alu instid0(VALU_DEP_3) | instskip(NEXT) | instid1(VALU_DEP_2)
	v_div_fixup_f64 v[22:23], v[28:29], v[20:21], v[26:27]
	v_mul_f64_e32 v[26:27], s[16:17], v[30:31]
	v_mul_f64_e32 v[28:29], s[18:19], v[30:31]
	;; [unrolled: 1-line block ×10, first 2 shown]
	v_fmac_f64_e32 v[26:27], s[44:45], v[22:23]
	v_fmac_f64_e32 v[28:29], s[46:47], v[22:23]
	;; [unrolled: 1-line block ×10, first 2 shown]
	v_fma_f64 v[46:47], 0x40080000, v[26:27], 1.0
	v_mul_f64_e32 v[48:49], 0x40120000, v[26:27]
	v_fma_f64 v[50:51], 0x40080000, v[28:29], 1.0
	v_mul_f64_e32 v[52:53], 0x40120000, v[28:29]
	;; [unrolled: 2-line block ×4, first 2 shown]
	v_fma_f64 v[22:23], 0x40080000, v[36:37], 1.0
	v_fma_f64 v[62:63], 0x40080000, v[38:39], 1.0
	v_fmac_f64_e32 v[46:47], v[26:27], v[48:49]
	v_mul_f64_e32 v[26:27], 0x40120000, v[38:39]
	v_fma_f64 v[48:49], 0x40080000, v[40:41], 1.0
	v_fmac_f64_e32 v[50:51], v[28:29], v[52:53]
	v_mul_f64_e32 v[28:29], 0x40120000, v[40:41]
	v_fma_f64 v[52:53], 0x40080000, v[42:43], 1.0
	v_fmac_f64_e32 v[54:55], v[32:33], v[56:57]
	v_mul_f64_e32 v[32:33], 0x40120000, v[42:43]
	v_fma_f64 v[56:57], 0x40080000, v[44:45], 1.0
	v_fmac_f64_e32 v[58:59], v[34:35], v[60:61]
	v_mul_f64_e32 v[34:35], 0x40120000, v[44:45]
	v_mul_f64_e32 v[60:61], 0x40120000, v[36:37]
	v_fmac_f64_e32 v[46:47], 0xbff80000, v[30:31]
	v_fmac_f64_e32 v[62:63], v[38:39], v[26:27]
	s_wait_kmcnt 0x0
	v_mul_f64_e32 v[26:27], s[52:53], v[20:21]
	v_mul_f64_e32 v[38:39], s[62:63], v[20:21]
	v_fmac_f64_e32 v[48:49], v[40:41], v[28:29]
	v_mul_f64_e32 v[28:29], s[54:55], v[20:21]
	v_mul_f64_e32 v[40:41], s[64:65], v[20:21]
	v_fmac_f64_e32 v[52:53], v[42:43], v[32:33]
	v_mul_f64_e32 v[32:33], s[56:57], v[20:21]
	v_mul_f64_e32 v[42:43], s[66:67], v[20:21]
	v_fmac_f64_e32 v[56:57], v[44:45], v[34:35]
	v_fmac_f64_e32 v[22:23], v[36:37], v[60:61]
	v_mul_f64_e32 v[34:35], s[58:59], v[20:21]
	v_mul_f64_e32 v[36:37], s[60:61], v[20:21]
	;; [unrolled: 1-line block ×3, first 2 shown]
	v_fmac_f64_e32 v[50:51], 0xbff80000, v[30:31]
	v_fmac_f64_e32 v[54:55], 0xbff80000, v[30:31]
	;; [unrolled: 1-line block ×8, first 2 shown]
	v_mul_f64_e32 v[30:31], v[46:47], v[38:39]
	v_mul_f64_e32 v[38:39], v[50:51], v[40:41]
	;; [unrolled: 1-line block ×9, first 2 shown]
	v_add_f64_e64 v[26:27], -s[6:7], 1.0
	v_mul_f64_e32 v[30:31], s[6:7], v[30:31]
	v_mul_f64_e32 v[38:39], s[6:7], v[38:39]
	;; [unrolled: 1-line block ×9, first 2 shown]
	v_fmac_f64_e32 v[30:31], v[26:27], v[12:13]
	v_fmac_f64_e32 v[38:39], v[26:27], v[14:15]
	v_fmac_f64_e32 v[40:41], v[26:27], v[0:1]
	v_fmac_f64_e32 v[20:21], v[26:27], v[2:3]
	v_fmac_f64_e32 v[28:29], v[26:27], v[8:9]
	v_fmac_f64_e32 v[32:33], v[26:27], v[10:11]
	v_fmac_f64_e32 v[34:35], v[26:27], v[4:5]
	v_fmac_f64_e32 v[36:37], v[26:27], v[6:7]
	v_fmac_f64_e32 v[22:23], v[26:27], v[18:19]
	v_mov_b64_e32 v[0:1], v[30:31]
	v_mov_b64_e32 v[2:3], v[38:39]
	;; [unrolled: 1-line block ×9, first 2 shown]
.LBB0_2:
	s_or_b32 exec_lo, exec_lo, s26
	s_mul_i32 s2, s3, s25
	s_add_co_i32 s3, s24, -1
	s_add_co_i32 s2, s2, -1
	v_cmp_gt_u32_e32 vcc_lo, s3, v25
	v_cmp_gt_u32_e64 s2, s2, v24
	v_cmp_ne_u32_e64 s3, 0, v25
	v_cmp_ne_u32_e64 s4, 0, v24
	s_and_b32 s2, vcc_lo, s2
	s_delay_alu instid0(SALU_CYCLE_1) | instskip(NEXT) | instid1(SALU_CYCLE_1)
	s_and_b32 s2, s3, s2
	s_and_b32 s2, s4, s2
	s_delay_alu instid0(SALU_CYCLE_1)
	s_and_saveexec_b32 s3, s2
	s_cbranch_execz .LBB0_4
; %bb.3:
	s_wait_kmcnt 0x0
	v_cvt_i32_f64_e32 v20, s[36:37]
	v_cvt_i32_f64_e32 v22, s[40:41]
	;; [unrolled: 1-line block ×16, first 2 shown]
	s_clause 0x2
	s_load_b64 s[2:3], s[0:1], 0x8
	s_load_b64 s[4:5], s[0:1], 0x18
	;; [unrolled: 1-line block ×3, first 2 shown]
	v_dual_add_nc_u32 v20, v25, v20 :: v_dual_add_nc_u32 v38, v25, v22
	v_dual_add_nc_u32 v22, v24, v30 :: v_dual_add_nc_u32 v21, v25, v21
	v_dual_add_nc_u32 v39, v25, v26 :: v_dual_add_nc_u32 v26, v24, v31
	v_add_nc_u32_e32 v40, v25, v28
	v_dual_add_nc_u32 v28, v24, v32 :: v_dual_add_nc_u32 v23, v25, v23
	v_dual_add_nc_u32 v27, v25, v27 :: v_dual_add_nc_u32 v25, v25, v29
	;; [unrolled: 1-line block ×3, first 2 shown]
	v_add_nc_u32_e32 v31, v24, v35
	v_mad_u32 v20, v22, s24, v20
	v_dual_add_nc_u32 v32, v24, v36 :: v_dual_add_nc_u32 v33, v24, v37
	v_mad_u32 v22, v26, s24, v21
	v_mad_u32 v24, v28, s24, v38
	;; [unrolled: 1-line block ×7, first 2 shown]
	s_wait_kmcnt 0x0
	v_lshl_add_u64 v[16:17], v[16:17], 3, s[2:3]
	v_dual_ashrrev_i32 v21, 31, v20 :: v_dual_ashrrev_i32 v23, 31, v22
	v_dual_ashrrev_i32 v25, 31, v24 :: v_dual_ashrrev_i32 v27, 31, v26
	;; [unrolled: 1-line block ×3, first 2 shown]
	s_wait_loadcnt 0x4
	global_store_b64 v[16:17], v[18:19], off
	s_wait_xcnt 0x0
	v_lshlrev_b64_e32 v[16:17], 5, v[20:21]
	v_dual_ashrrev_i32 v33, 31, v32 :: v_dual_ashrrev_i32 v35, 31, v34
	v_lshlrev_b64_e32 v[18:19], 5, v[22:23]
	v_lshlrev_b64_e32 v[20:21], 5, v[24:25]
	;; [unrolled: 1-line block ×6, first 2 shown]
	v_add_nc_u64_e32 v[16:17], s[4:5], v[16:17]
	v_lshlrev_b64_e32 v[30:31], 5, v[34:35]
	v_add_nc_u64_e32 v[18:19], s[4:5], v[18:19]
	v_add_nc_u64_e32 v[20:21], s[4:5], v[20:21]
	;; [unrolled: 1-line block ×7, first 2 shown]
	s_wait_loadcnt 0x3
	s_clause 0x1
	global_store_b64 v[16:17], v[4:5], off
	global_store_b64 v[18:19], v[6:7], off offset:8
	s_wait_loadcnt 0x2
	s_clause 0x1
	global_store_b64 v[20:21], v[8:9], off offset:16
	global_store_b64 v[22:23], v[10:11], off offset:24
	s_wait_loadcnt 0x1
	s_clause 0x1
	global_store_b64 v[24:25], v[0:1], off
	global_store_b64 v[26:27], v[2:3], off offset:8
	s_wait_loadcnt 0x0
	s_clause 0x1
	global_store_b64 v[28:29], v[12:13], off offset:16
	global_store_b64 v[30:31], v[14:15], off offset:24
.LBB0_4:
	s_endpgm
	.section	.rodata,"a",@progbits
	.p2align	6, 0x0
	.amdhsa_kernel _Z3lbmPKdPdPK15HIP_vector_typeIdLj4EEPS3_S5_S6_PKb7double8S9_S0_d
		.amdhsa_group_segment_fixed_size 0
		.amdhsa_private_segment_fixed_size 0
		.amdhsa_kernarg_size 464
		.amdhsa_user_sgpr_count 2
		.amdhsa_user_sgpr_dispatch_ptr 0
		.amdhsa_user_sgpr_queue_ptr 0
		.amdhsa_user_sgpr_kernarg_segment_ptr 1
		.amdhsa_user_sgpr_dispatch_id 0
		.amdhsa_user_sgpr_kernarg_preload_length 0
		.amdhsa_user_sgpr_kernarg_preload_offset 0
		.amdhsa_user_sgpr_private_segment_size 0
		.amdhsa_wavefront_size32 1
		.amdhsa_uses_dynamic_stack 0
		.amdhsa_enable_private_segment 0
		.amdhsa_system_sgpr_workgroup_id_x 1
		.amdhsa_system_sgpr_workgroup_id_y 1
		.amdhsa_system_sgpr_workgroup_id_z 0
		.amdhsa_system_sgpr_workgroup_info 0
		.amdhsa_system_vgpr_workitem_id 1
		.amdhsa_next_free_vgpr 64
		.amdhsa_next_free_sgpr 68
		.amdhsa_named_barrier_count 0
		.amdhsa_reserve_vcc 1
		.amdhsa_float_round_mode_32 0
		.amdhsa_float_round_mode_16_64 0
		.amdhsa_float_denorm_mode_32 3
		.amdhsa_float_denorm_mode_16_64 3
		.amdhsa_fp16_overflow 0
		.amdhsa_memory_ordered 1
		.amdhsa_forward_progress 1
		.amdhsa_inst_pref_size 15
		.amdhsa_round_robin_scheduling 0
		.amdhsa_exception_fp_ieee_invalid_op 0
		.amdhsa_exception_fp_denorm_src 0
		.amdhsa_exception_fp_ieee_div_zero 0
		.amdhsa_exception_fp_ieee_overflow 0
		.amdhsa_exception_fp_ieee_underflow 0
		.amdhsa_exception_fp_ieee_inexact 0
		.amdhsa_exception_int_div_zero 0
	.end_amdhsa_kernel
	.text
.Lfunc_end0:
	.size	_Z3lbmPKdPdPK15HIP_vector_typeIdLj4EEPS3_S5_S6_PKb7double8S9_S0_d, .Lfunc_end0-_Z3lbmPKdPdPK15HIP_vector_typeIdLj4EEPS3_S5_S6_PKb7double8S9_S0_d
                                        ; -- End function
	.set _Z3lbmPKdPdPK15HIP_vector_typeIdLj4EEPS3_S5_S6_PKb7double8S9_S0_d.num_vgpr, 64
	.set _Z3lbmPKdPdPK15HIP_vector_typeIdLj4EEPS3_S5_S6_PKb7double8S9_S0_d.num_agpr, 0
	.set _Z3lbmPKdPdPK15HIP_vector_typeIdLj4EEPS3_S5_S6_PKb7double8S9_S0_d.numbered_sgpr, 68
	.set _Z3lbmPKdPdPK15HIP_vector_typeIdLj4EEPS3_S5_S6_PKb7double8S9_S0_d.num_named_barrier, 0
	.set _Z3lbmPKdPdPK15HIP_vector_typeIdLj4EEPS3_S5_S6_PKb7double8S9_S0_d.private_seg_size, 0
	.set _Z3lbmPKdPdPK15HIP_vector_typeIdLj4EEPS3_S5_S6_PKb7double8S9_S0_d.uses_vcc, 1
	.set _Z3lbmPKdPdPK15HIP_vector_typeIdLj4EEPS3_S5_S6_PKb7double8S9_S0_d.uses_flat_scratch, 0
	.set _Z3lbmPKdPdPK15HIP_vector_typeIdLj4EEPS3_S5_S6_PKb7double8S9_S0_d.has_dyn_sized_stack, 0
	.set _Z3lbmPKdPdPK15HIP_vector_typeIdLj4EEPS3_S5_S6_PKb7double8S9_S0_d.has_recursion, 0
	.set _Z3lbmPKdPdPK15HIP_vector_typeIdLj4EEPS3_S5_S6_PKb7double8S9_S0_d.has_indirect_call, 0
	.section	.AMDGPU.csdata,"",@progbits
; Kernel info:
; codeLenInByte = 1856
; TotalNumSgprs: 70
; NumVgprs: 64
; ScratchSize: 0
; MemoryBound: 0
; FloatMode: 240
; IeeeMode: 1
; LDSByteSize: 0 bytes/workgroup (compile time only)
; SGPRBlocks: 0
; VGPRBlocks: 3
; NumSGPRsForWavesPerEU: 70
; NumVGPRsForWavesPerEU: 64
; NamedBarCnt: 0
; Occupancy: 16
; WaveLimiterHint : 0
; COMPUTE_PGM_RSRC2:SCRATCH_EN: 0
; COMPUTE_PGM_RSRC2:USER_SGPR: 2
; COMPUTE_PGM_RSRC2:TRAP_HANDLER: 0
; COMPUTE_PGM_RSRC2:TGID_X_EN: 1
; COMPUTE_PGM_RSRC2:TGID_Y_EN: 1
; COMPUTE_PGM_RSRC2:TGID_Z_EN: 0
; COMPUTE_PGM_RSRC2:TIDIG_COMP_CNT: 1
	.text
	.p2alignl 7, 3214868480
	.fill 96, 4, 3214868480
	.section	.AMDGPU.gpr_maximums,"",@progbits
	.set amdgpu.max_num_vgpr, 0
	.set amdgpu.max_num_agpr, 0
	.set amdgpu.max_num_sgpr, 0
	.text
	.type	__hip_cuid_973802642522516c,@object ; @__hip_cuid_973802642522516c
	.section	.bss,"aw",@nobits
	.globl	__hip_cuid_973802642522516c
__hip_cuid_973802642522516c:
	.byte	0                               ; 0x0
	.size	__hip_cuid_973802642522516c, 1

	.ident	"AMD clang version 22.0.0git (https://github.com/RadeonOpenCompute/llvm-project roc-7.2.4 26084 f58b06dce1f9c15707c5f808fd002e18c2accf7e)"
	.section	".note.GNU-stack","",@progbits
	.addrsig
	.addrsig_sym __hip_cuid_973802642522516c
	.amdgpu_metadata
---
amdhsa.kernels:
  - .args:
      - .actual_access:  read_only
        .address_space:  global
        .offset:         0
        .size:           8
        .value_kind:     global_buffer
      - .actual_access:  write_only
        .address_space:  global
        .offset:         8
        .size:           8
        .value_kind:     global_buffer
      - .actual_access:  read_only
        .address_space:  global
        .offset:         16
        .size:           8
        .value_kind:     global_buffer
      - .actual_access:  write_only
        .address_space:  global
        .offset:         24
        .size:           8
        .value_kind:     global_buffer
      - .actual_access:  read_only
        .address_space:  global
        .offset:         32
        .size:           8
        .value_kind:     global_buffer
      - .actual_access:  write_only
        .address_space:  global
        .offset:         40
        .size:           8
        .value_kind:     global_buffer
      - .actual_access:  read_only
        .address_space:  global
        .offset:         48
        .size:           8
        .value_kind:     global_buffer
      - .offset:         64
        .size:           64
        .value_kind:     by_value
      - .offset:         128
        .size:           64
        .value_kind:     by_value
      - .actual_access:  read_only
        .address_space:  global
        .offset:         192
        .size:           8
        .value_kind:     global_buffer
      - .offset:         200
        .size:           8
        .value_kind:     by_value
      - .offset:         208
        .size:           4
        .value_kind:     hidden_block_count_x
      - .offset:         212
        .size:           4
        .value_kind:     hidden_block_count_y
      - .offset:         216
        .size:           4
        .value_kind:     hidden_block_count_z
      - .offset:         220
        .size:           2
        .value_kind:     hidden_group_size_x
      - .offset:         222
        .size:           2
        .value_kind:     hidden_group_size_y
      - .offset:         224
        .size:           2
        .value_kind:     hidden_group_size_z
      - .offset:         226
        .size:           2
        .value_kind:     hidden_remainder_x
      - .offset:         228
        .size:           2
        .value_kind:     hidden_remainder_y
      - .offset:         230
        .size:           2
        .value_kind:     hidden_remainder_z
      - .offset:         248
        .size:           8
        .value_kind:     hidden_global_offset_x
      - .offset:         256
        .size:           8
        .value_kind:     hidden_global_offset_y
      - .offset:         264
        .size:           8
        .value_kind:     hidden_global_offset_z
      - .offset:         272
        .size:           2
        .value_kind:     hidden_grid_dims
    .group_segment_fixed_size: 0
    .kernarg_segment_align: 64
    .kernarg_segment_size: 464
    .language:       OpenCL C
    .language_version:
      - 2
      - 0
    .max_flat_workgroup_size: 1024
    .name:           _Z3lbmPKdPdPK15HIP_vector_typeIdLj4EEPS3_S5_S6_PKb7double8S9_S0_d
    .private_segment_fixed_size: 0
    .sgpr_count:     70
    .sgpr_spill_count: 0
    .symbol:         _Z3lbmPKdPdPK15HIP_vector_typeIdLj4EEPS3_S5_S6_PKb7double8S9_S0_d.kd
    .uniform_work_group_size: 1
    .uses_dynamic_stack: false
    .vgpr_count:     64
    .vgpr_spill_count: 0
    .wavefront_size: 32
amdhsa.target:   amdgcn-amd-amdhsa--gfx1250
amdhsa.version:
  - 1
  - 2
...

	.end_amdgpu_metadata
